;; amdgpu-corpus repo=ROCm/rocFFT kind=compiled arch=gfx950 opt=O3
	.text
	.amdgcn_target "amdgcn-amd-amdhsa--gfx950"
	.amdhsa_code_object_version 6
	.protected	fft_rtc_back_len968_factors_2_2_2_11_11_wgs_176_tpt_88_half_op_CI_CI_unitstride_sbrr_R2C_dirReg ; -- Begin function fft_rtc_back_len968_factors_2_2_2_11_11_wgs_176_tpt_88_half_op_CI_CI_unitstride_sbrr_R2C_dirReg
	.globl	fft_rtc_back_len968_factors_2_2_2_11_11_wgs_176_tpt_88_half_op_CI_CI_unitstride_sbrr_R2C_dirReg
	.p2align	8
	.type	fft_rtc_back_len968_factors_2_2_2_11_11_wgs_176_tpt_88_half_op_CI_CI_unitstride_sbrr_R2C_dirReg,@function
fft_rtc_back_len968_factors_2_2_2_11_11_wgs_176_tpt_88_half_op_CI_CI_unitstride_sbrr_R2C_dirReg: ; @fft_rtc_back_len968_factors_2_2_2_11_11_wgs_176_tpt_88_half_op_CI_CI_unitstride_sbrr_R2C_dirReg
; %bb.0:
	s_load_dwordx4 s[4:7], s[0:1], 0x58
	s_load_dwordx4 s[8:11], s[0:1], 0x0
	;; [unrolled: 1-line block ×3, first 2 shown]
	v_mul_u32_u24_e32 v1, 0x2e9, v0
	v_lshrrev_b32_e32 v1, 16, v1
	v_lshl_add_u32 v8, s2, 1, v1
	v_mov_b32_e32 v6, 0
	s_waitcnt lgkmcnt(0)
	v_cmp_lt_u64_e64 s[2:3], s[10:11], 2
	v_mov_b32_e32 v9, v6
	s_and_b64 vcc, exec, s[2:3]
	v_mov_b64_e32 v[18:19], 0
	s_cbranch_vccnz .LBB0_8
; %bb.1:
	s_load_dwordx2 s[2:3], s[0:1], 0x10
	s_add_u32 s16, s14, 8
	s_addc_u32 s17, s15, 0
	s_add_u32 s18, s12, 8
	s_addc_u32 s19, s13, 0
	s_waitcnt lgkmcnt(0)
	s_add_u32 s20, s2, 8
	v_mov_b64_e32 v[18:19], 0
	s_addc_u32 s21, s3, 0
	s_mov_b64 s[22:23], 1
	v_mov_b64_e32 v[2:3], v[18:19]
.LBB0_2:                                ; =>This Inner Loop Header: Depth=1
	s_load_dwordx2 s[24:25], s[20:21], 0x0
                                        ; implicit-def: $vgpr4_vgpr5
	s_waitcnt lgkmcnt(0)
	v_or_b32_e32 v7, s25, v9
	v_cmp_ne_u64_e32 vcc, 0, v[6:7]
	s_and_saveexec_b64 s[2:3], vcc
	s_xor_b64 s[26:27], exec, s[2:3]
	s_cbranch_execz .LBB0_4
; %bb.3:                                ;   in Loop: Header=BB0_2 Depth=1
	v_cvt_f32_u32_e32 v4, s24
	v_cvt_f32_u32_e32 v5, s25
	s_sub_u32 s2, 0, s24
	s_subb_u32 s3, 0, s25
	v_fmac_f32_e32 v4, 0x4f800000, v5
	v_rcp_f32_e32 v4, v4
	s_nop 0
	v_mul_f32_e32 v4, 0x5f7ffffc, v4
	v_mul_f32_e32 v5, 0x2f800000, v4
	v_trunc_f32_e32 v5, v5
	v_fmac_f32_e32 v4, 0xcf800000, v5
	v_cvt_u32_f32_e32 v7, v5
	v_cvt_u32_f32_e32 v12, v4
	v_mul_lo_u32 v4, s2, v7
	v_mul_hi_u32 v10, s2, v12
	v_mul_lo_u32 v5, s3, v12
	v_add_u32_e32 v10, v10, v4
	v_mul_lo_u32 v13, s2, v12
	v_add_u32_e32 v14, v10, v5
	v_mul_hi_u32 v4, v12, v13
	v_mul_hi_u32 v11, v12, v14
	v_mul_lo_u32 v10, v12, v14
	v_mov_b32_e32 v5, v6
	v_lshl_add_u64 v[4:5], v[4:5], 0, v[10:11]
	v_mul_hi_u32 v11, v7, v13
	v_mul_lo_u32 v13, v7, v13
	v_add_co_u32_e32 v4, vcc, v4, v13
	v_mul_hi_u32 v10, v7, v14
	s_nop 0
	v_addc_co_u32_e32 v4, vcc, v5, v11, vcc
	v_mov_b32_e32 v5, v6
	s_nop 0
	v_addc_co_u32_e32 v11, vcc, 0, v10, vcc
	v_mul_lo_u32 v10, v7, v14
	v_lshl_add_u64 v[4:5], v[4:5], 0, v[10:11]
	v_add_co_u32_e32 v12, vcc, v12, v4
	v_mul_lo_u32 v10, s2, v12
	s_nop 0
	v_addc_co_u32_e32 v7, vcc, v7, v5, vcc
	v_mul_lo_u32 v4, s2, v7
	v_mul_hi_u32 v5, s2, v12
	v_add_u32_e32 v4, v5, v4
	v_mul_lo_u32 v5, s3, v12
	v_add_u32_e32 v13, v4, v5
	v_mul_hi_u32 v15, v7, v10
	v_mul_lo_u32 v16, v7, v10
	v_mul_hi_u32 v5, v12, v13
	v_mul_lo_u32 v4, v12, v13
	v_mul_hi_u32 v10, v12, v10
	v_mov_b32_e32 v11, v6
	v_lshl_add_u64 v[4:5], v[10:11], 0, v[4:5]
	v_add_co_u32_e32 v4, vcc, v4, v16
	v_mul_hi_u32 v14, v7, v13
	s_nop 0
	v_addc_co_u32_e32 v4, vcc, v5, v15, vcc
	v_mul_lo_u32 v10, v7, v13
	s_nop 0
	v_addc_co_u32_e32 v11, vcc, 0, v14, vcc
	v_mov_b32_e32 v5, v6
	v_lshl_add_u64 v[4:5], v[4:5], 0, v[10:11]
	v_add_co_u32_e32 v12, vcc, v12, v4
	v_mul_hi_u32 v10, v8, v12
	s_nop 0
	v_addc_co_u32_e32 v7, vcc, v7, v5, vcc
	v_mad_u64_u32 v[4:5], s[2:3], v8, v7, 0
	v_mov_b32_e32 v11, v6
	v_lshl_add_u64 v[4:5], v[10:11], 0, v[4:5]
	v_mad_u64_u32 v[12:13], s[2:3], v9, v12, 0
	v_add_co_u32_e32 v4, vcc, v4, v12
	v_mad_u64_u32 v[10:11], s[2:3], v9, v7, 0
	s_nop 0
	v_addc_co_u32_e32 v4, vcc, v5, v13, vcc
	v_mov_b32_e32 v5, v6
	s_nop 0
	v_addc_co_u32_e32 v11, vcc, 0, v11, vcc
	v_lshl_add_u64 v[4:5], v[4:5], 0, v[10:11]
	v_mul_lo_u32 v7, s25, v4
	v_mul_lo_u32 v12, s24, v5
	v_mad_u64_u32 v[10:11], s[2:3], s24, v4, 0
	v_add3_u32 v7, v11, v12, v7
	v_sub_u32_e32 v11, v9, v7
	v_mov_b32_e32 v12, s25
	v_sub_co_u32_e32 v14, vcc, v8, v10
	s_nop 1
	v_subb_co_u32_e64 v10, s[2:3], v11, v12, vcc
	v_subrev_co_u32_e64 v11, s[2:3], s24, v14
	v_subb_co_u32_e32 v7, vcc, v9, v7, vcc
	s_nop 0
	v_subbrev_co_u32_e64 v10, s[2:3], 0, v10, s[2:3]
	v_cmp_le_u32_e64 s[2:3], s25, v10
	v_cmp_le_u32_e32 vcc, s25, v7
	s_nop 0
	v_cndmask_b32_e64 v12, 0, -1, s[2:3]
	v_cmp_le_u32_e64 s[2:3], s24, v11
	s_nop 1
	v_cndmask_b32_e64 v11, 0, -1, s[2:3]
	v_cmp_eq_u32_e64 s[2:3], s25, v10
	s_nop 1
	v_cndmask_b32_e64 v15, v12, v11, s[2:3]
	v_lshl_add_u64 v[10:11], v[4:5], 0, 2
	v_lshl_add_u64 v[12:13], v[4:5], 0, 1
	v_cmp_ne_u32_e64 s[2:3], 0, v15
	s_nop 1
	v_cndmask_b32_e64 v11, v13, v11, s[2:3]
	v_cndmask_b32_e64 v13, 0, -1, vcc
	v_cmp_le_u32_e32 vcc, s24, v14
	s_nop 1
	v_cndmask_b32_e64 v14, 0, -1, vcc
	v_cmp_eq_u32_e32 vcc, s25, v7
	s_nop 1
	v_cndmask_b32_e32 v7, v13, v14, vcc
	v_cmp_ne_u32_e32 vcc, 0, v7
	v_cndmask_b32_e64 v7, v12, v10, s[2:3]
	s_nop 0
	v_cndmask_b32_e32 v5, v5, v11, vcc
	v_cndmask_b32_e32 v4, v4, v7, vcc
.LBB0_4:                                ;   in Loop: Header=BB0_2 Depth=1
	s_andn2_saveexec_b64 s[2:3], s[26:27]
	s_cbranch_execz .LBB0_6
; %bb.5:                                ;   in Loop: Header=BB0_2 Depth=1
	v_cvt_f32_u32_e32 v4, s24
	s_sub_i32 s26, 0, s24
	v_rcp_iflag_f32_e32 v4, v4
	s_nop 0
	v_mul_f32_e32 v4, 0x4f7ffffe, v4
	v_cvt_u32_f32_e32 v4, v4
	v_mul_lo_u32 v5, s26, v4
	v_mul_hi_u32 v5, v4, v5
	v_add_u32_e32 v4, v4, v5
	v_mul_hi_u32 v4, v8, v4
	v_mul_lo_u32 v5, v4, s24
	v_sub_u32_e32 v5, v8, v5
	v_add_u32_e32 v7, 1, v4
	v_subrev_u32_e32 v10, s24, v5
	v_cmp_le_u32_e32 vcc, s24, v5
	s_nop 1
	v_cndmask_b32_e32 v5, v5, v10, vcc
	v_cndmask_b32_e32 v4, v4, v7, vcc
	v_add_u32_e32 v7, 1, v4
	v_cmp_le_u32_e32 vcc, s24, v5
	v_mov_b32_e32 v5, v6
	s_nop 0
	v_cndmask_b32_e32 v4, v4, v7, vcc
.LBB0_6:                                ;   in Loop: Header=BB0_2 Depth=1
	s_or_b64 exec, exec, s[2:3]
	v_mad_u64_u32 v[10:11], s[2:3], v4, s24, 0
	s_load_dwordx2 s[2:3], s[18:19], 0x0
	v_mul_lo_u32 v7, v5, s24
	v_mul_lo_u32 v12, v4, s25
	s_load_dwordx2 s[24:25], s[16:17], 0x0
	s_add_u32 s22, s22, 1
	v_add3_u32 v7, v11, v12, v7
	v_sub_co_u32_e32 v8, vcc, v8, v10
	s_addc_u32 s23, s23, 0
	s_nop 0
	v_subb_co_u32_e32 v7, vcc, v9, v7, vcc
	s_add_u32 s16, s16, 8
	s_waitcnt lgkmcnt(0)
	v_mul_lo_u32 v9, s2, v7
	v_mul_lo_u32 v10, s3, v8
	v_mad_u64_u32 v[18:19], s[2:3], s2, v8, v[18:19]
	s_addc_u32 s17, s17, 0
	v_add3_u32 v19, v10, v19, v9
	v_mul_lo_u32 v7, s24, v7
	v_mul_lo_u32 v9, s25, v8
	v_mad_u64_u32 v[2:3], s[2:3], s24, v8, v[2:3]
	s_add_u32 s18, s18, 8
	v_add3_u32 v3, v9, v3, v7
	s_addc_u32 s19, s19, 0
	v_mov_b64_e32 v[8:9], s[10:11]
	s_add_u32 s20, s20, 8
	v_cmp_ge_u64_e32 vcc, s[22:23], v[8:9]
	s_addc_u32 s21, s21, 0
	s_cbranch_vccnz .LBB0_9
; %bb.7:                                ;   in Loop: Header=BB0_2 Depth=1
	v_mov_b64_e32 v[8:9], v[4:5]
	s_branch .LBB0_2
.LBB0_8:
	v_mov_b64_e32 v[2:3], v[18:19]
	v_mov_b64_e32 v[4:5], v[8:9]
.LBB0_9:
	s_load_dwordx2 s[2:3], s[0:1], 0x28
	s_lshl_b64 s[16:17], s[10:11], 3
	s_add_u32 s10, s14, s16
	v_and_b32_e32 v1, 1, v1
	s_addc_u32 s11, s15, s17
	v_cmp_eq_u32_e64 s[0:1], 1, v1
	v_mov_b32_e32 v1, 0x3c9
	s_waitcnt lgkmcnt(0)
	v_cmp_gt_u64_e32 vcc, s[2:3], v[4:5]
	v_cmp_le_u64_e64 s[2:3], s[2:3], v[4:5]
                                        ; implicit-def: $vgpr6
                                        ; implicit-def: $vgpr8
                                        ; implicit-def: $vgpr16
                                        ; implicit-def: $vgpr14
                                        ; implicit-def: $vgpr12
                                        ; implicit-def: $vgpr10
	s_and_saveexec_b64 s[14:15], s[2:3]
	s_xor_b64 s[2:3], exec, s[14:15]
; %bb.10:
	s_mov_b32 s14, 0x2e8ba2f
	v_mul_hi_u32 v6, v0, s14
	v_mul_u32_u24_e32 v6, 0x58, v6
	v_sub_u32_e32 v6, v0, v6
	v_add_u32_e32 v8, 0x58, v6
	v_add_u32_e32 v16, 0xb0, v6
	;; [unrolled: 1-line block ×5, first 2 shown]
                                        ; implicit-def: $vgpr0
                                        ; implicit-def: $vgpr18_vgpr19
; %bb.11:
	s_or_saveexec_b64 s[2:3], s[2:3]
	v_cndmask_b32_e64 v1, 0, v1, s[0:1]
	v_lshlrev_b32_e32 v13, 2, v1
	s_xor_b64 exec, exec, s[2:3]
	s_cbranch_execz .LBB0_13
; %bb.12:
	s_add_u32 s0, s12, s16
	s_addc_u32 s1, s13, s17
	s_load_dwordx2 s[0:1], s[0:1], 0x0
	s_mov_b32 s12, 0x2e8ba2f
	s_waitcnt lgkmcnt(0)
	v_mul_lo_u32 v1, s1, v4
	v_mul_lo_u32 v6, s0, v5
	v_mad_u64_u32 v[8:9], s[0:1], s0, v4, 0
	v_add3_u32 v9, v9, v6, v1
	v_mul_hi_u32 v1, v0, s12
	v_mul_u32_u24_e32 v1, 0x58, v1
	v_sub_u32_e32 v6, v0, v1
	v_lshl_add_u64 v[0:1], v[8:9], 2, s[4:5]
	v_lshl_add_u64 v[0:1], v[18:19], 2, v[0:1]
	v_lshlrev_b32_e32 v18, 2, v6
	v_mov_b32_e32 v19, 0
	v_lshl_add_u64 v[0:1], v[0:1], 0, v[18:19]
	global_load_dword v7, v[0:1], off
	global_load_dword v9, v[0:1], off offset:352
	global_load_dword v11, v[0:1], off offset:704
	;; [unrolled: 1-line block ×10, first 2 shown]
	v_add_u32_e32 v8, 0x58, v6
	v_add_u32_e32 v16, 0xb0, v6
	;; [unrolled: 1-line block ×5, first 2 shown]
	v_add3_u32 v0, 0, v13, v18
	v_add_u32_e32 v1, 0x200, v0
	v_add_u32_e32 v18, 0x400, v0
	;; [unrolled: 1-line block ×4, first 2 shown]
	s_waitcnt vmcnt(9)
	ds_write2_b32 v0, v7, v9 offset1:88
	s_waitcnt vmcnt(7)
	ds_write2_b32 v1, v11, v15 offset0:48 offset1:136
	s_waitcnt vmcnt(5)
	ds_write2_b32 v18, v17, v19 offset0:96 offset1:184
	s_waitcnt vmcnt(3)
	ds_write2_b32 v25, v20, v21 offset0:16 offset1:104
	s_waitcnt vmcnt(1)
	ds_write2_b32 v26, v22, v23 offset0:64 offset1:152
	s_waitcnt vmcnt(0)
	ds_write_b32 v0, v24 offset:3520
.LBB0_13:
	s_or_b64 exec, exec, s[2:3]
	v_lshlrev_b32_e32 v7, 2, v6
	v_add3_u32 v9, 0, v7, v13
	v_add_u32_e32 v20, 0, v13
	v_add_u32_e32 v18, 0x400, v9
	;; [unrolled: 1-line block ×3, first 2 shown]
	s_load_dwordx2 s[4:5], s[10:11], 0x0
	s_waitcnt lgkmcnt(0)
	s_barrier
	ds_read2_b32 v[0:1], v18 offset0:184 offset1:228
	ds_read_b32 v15, v9 offset:3696
	ds_read_b32 v19, v11
	ds_read2_b32 v[24:25], v18 offset0:8 offset1:96
	v_add_u32_e32 v18, 0xa00, v9
	ds_read2_b32 v[26:27], v18 offset0:108 offset1:196
	v_add_u32_e32 v18, 0x800, v9
	ds_read2_b32 v[30:31], v9 offset0:88 offset1:176
	ds_read2_b32 v[32:33], v18 offset0:60 offset1:148
	s_waitcnt lgkmcnt(4)
	v_pk_add_f16 v1, v19, v1 neg_lo:[0,1] neg_hi:[0,1]
	v_lshrrev_b32_e32 v37, 16, v19
	v_lshrrev_b32_e32 v38, 16, v1
	v_fma_f16 v37, v37, 2.0, -v38
	v_pk_add_f16 v29, v0, v15 neg_lo:[0,1] neg_hi:[0,1]
	v_fma_f16 v19, v19, 2.0, -v1
	v_lshlrev_b32_e32 v37, 16, v37
	v_pk_fma_f16 v28, v0, 2.0, v29 op_sel_hi:[1,0,1] neg_lo:[0,0,1] neg_hi:[0,0,1]
	v_add_u32_e32 v0, v9, v7
	v_lshl_add_u32 v15, v8, 3, 0
	v_lshl_add_u32 v17, v16, 3, 0
	;; [unrolled: 1-line block ×4, first 2 shown]
	s_waitcnt lgkmcnt(2)
	v_pk_add_f16 v27, v25, v27 neg_lo:[0,1] neg_hi:[0,1]
	v_pk_add_f16 v26, v24, v26 neg_lo:[0,1] neg_hi:[0,1]
	s_waitcnt lgkmcnt(0)
	v_pk_add_f16 v33, v31, v33 neg_lo:[0,1] neg_hi:[0,1]
	v_pk_add_f16 v32, v30, v32 neg_lo:[0,1] neg_hi:[0,1]
	v_or_b32_sdwa v19, v37, v19 dst_sel:DWORD dst_unused:UNUSED_PAD src0_sel:DWORD src1_sel:WORD_0
	v_cmp_gt_u32_e64 s[0:1], 44, v6
	v_add_u32_e32 v23, v15, v13
	v_add_u32_e32 v34, v17, v13
	;; [unrolled: 1-line block ×4, first 2 shown]
	v_pk_fma_f16 v25, v25, 2.0, v27 op_sel_hi:[1,0,1] neg_lo:[0,0,1] neg_hi:[0,0,1]
	v_pk_fma_f16 v24, v24, 2.0, v26 op_sel_hi:[1,0,1] neg_lo:[0,0,1] neg_hi:[0,0,1]
	;; [unrolled: 1-line block ×4, first 2 shown]
	s_barrier
	ds_write2_b32 v0, v19, v1 offset1:1
	ds_write2_b32 v23, v30, v32 offset1:1
	;; [unrolled: 1-line block ×5, first 2 shown]
	s_and_saveexec_b64 s[2:3], s[0:1]
	s_cbranch_execz .LBB0_15
; %bb.14:
	v_lshlrev_b32_e32 v0, 3, v10
	v_add3_u32 v0, 0, v0, v13
	ds_write2_b32 v0, v28, v29 offset1:1
.LBB0_15:
	s_or_b64 exec, exec, s[2:3]
	v_lshlrev_b32_e32 v19, 2, v8
	v_sub_u32_e32 v15, v15, v19
	v_lshlrev_b32_e32 v19, 2, v16
	v_lshlrev_b32_e32 v23, 2, v14
	v_sub_u32_e32 v17, v17, v19
	v_sub_u32_e32 v21, v21, v23
	v_lshlrev_b32_e32 v23, 2, v12
	v_add_u32_e32 v0, 0x600, v9
	v_add_u32_e32 v17, v17, v13
	v_sub_u32_e32 v22, v22, v23
	s_waitcnt lgkmcnt(0)
	s_barrier
	ds_read_b32 v33, v11
	ds_read2_b32 v[0:1], v0 offset0:100 offset1:188
	v_add_u32_e32 v15, v15, v13
	ds_read2_b32 v[18:19], v18 offset0:148 offset1:236
	v_add_u32_e32 v21, v21, v13
	v_add_u32_e32 v22, v22, v13
	ds_read_b32 v34, v17
	ds_read_b32 v35, v21
	;; [unrolled: 1-line block ×4, first 2 shown]
	ds_read_b32 v31, v9 offset:3344
	v_lshlrev_b32_e32 v24, 1, v8
	v_lshlrev_b32_e32 v25, 1, v16
	;; [unrolled: 1-line block ×5, first 2 shown]
	s_and_saveexec_b64 s[2:3], s[0:1]
	s_cbranch_execz .LBB0_17
; %bb.16:
	v_add3_u32 v28, 0, v23, v13
	ds_read_b32 v28, v28
	ds_read_b32 v29, v9 offset:3696
.LBB0_17:
	s_or_b64 exec, exec, s[2:3]
	v_and_b32_e32 v38, 1, v6
	v_lshlrev_b32_e32 v30, 2, v38
	global_load_dword v32, v30, s[8:9]
	s_waitcnt lgkmcnt(6)
	v_lshrrev_b32_e32 v39, 16, v0
	s_waitcnt lgkmcnt(0)
	v_lshrrev_b32_e32 v42, 16, v29
	v_lshrrev_b32_e32 v40, 16, v33
	v_lshlrev_b32_e32 v30, 1, v6
	s_movk_i32 s2, 0xfc
	s_movk_i32 s3, 0x1fc
	;; [unrolled: 1-line block ×3, first 2 shown]
	s_mov_b32 s11, 0xffff
	v_and_or_b32 v43, v30, s2, v38
	v_lshrrev_b32_e32 v41, 16, v28
	v_and_or_b32 v44, v24, s3, v38
	v_and_or_b32 v45, v25, s10, v38
	;; [unrolled: 1-line block ×4, first 2 shown]
	v_lshlrev_b32_e32 v43, 2, v43
	v_lshlrev_b32_e32 v44, 2, v44
	;; [unrolled: 1-line block ×5, first 2 shown]
	v_add3_u32 v43, 0, v43, v13
	s_barrier
	v_add3_u32 v44, 0, v44, v13
	v_add3_u32 v45, 0, v45, v13
	;; [unrolled: 1-line block ×4, first 2 shown]
	s_waitcnt vmcnt(0)
	v_lshrrev_b32_e32 v48, 16, v32
	v_pk_mul_f16 v49, v32, v31 op_sel:[0,1]
	v_mul_f16_e32 v50, v29, v32
	v_mul_f16_e32 v51, v42, v32
	v_pk_mul_f16 v52, v32, v1 op_sel:[0,1]
	v_pk_mul_f16 v53, v32, v18 op_sel:[0,1]
	v_pk_mul_f16 v54, v32, v19 op_sel:[0,1]
	v_mul_f16_e32 v55, v48, v39
	v_mul_f16_e32 v56, v48, v0
	v_pk_fma_f16 v57, v32, v31, v49 op_sel:[0,0,1] op_sel_hi:[1,1,0]
	v_pk_fma_f16 v31, v32, v31, v49 op_sel:[0,0,1] op_sel_hi:[1,0,0] neg_lo:[1,0,0] neg_hi:[1,0,0]
	v_fma_f16 v42, v42, v48, v50
	v_fma_f16 v48, -v29, v48, v51
	v_pk_fma_f16 v49, v32, v1, v52 op_sel:[0,0,1] op_sel_hi:[1,1,0]
	v_pk_fma_f16 v1, v32, v1, v52 op_sel:[0,0,1] op_sel_hi:[1,0,0] neg_lo:[1,0,0] neg_hi:[1,0,0]
	v_pk_fma_f16 v50, v32, v18, v53 op_sel:[0,0,1] op_sel_hi:[1,1,0]
	v_pk_fma_f16 v18, v32, v18, v53 op_sel:[0,0,1] op_sel_hi:[1,0,0] neg_lo:[1,0,0] neg_hi:[1,0,0]
	;; [unrolled: 2-line block ×3, first 2 shown]
	v_fma_f16 v0, v32, v0, v55
	v_fma_f16 v32, v32, v39, -v56
	v_sub_f16_e32 v29, v28, v42
	v_sub_f16_e32 v42, v40, v32
	;; [unrolled: 1-line block ×3, first 2 shown]
	v_fma_f16 v40, v40, 2.0, -v42
	v_bfi_b32 v39, s11, v57, v31
	v_bfi_b32 v1, s11, v49, v1
	;; [unrolled: 1-line block ×4, first 2 shown]
	v_fma_f16 v33, v33, 2.0, -v0
	v_lshlrev_b32_e32 v40, 16, v40
	v_sub_f16_e32 v31, v41, v48
	v_pk_add_f16 v39, v37, v39 neg_lo:[0,1] neg_hi:[0,1]
	v_pk_add_f16 v1, v36, v1 neg_lo:[0,1] neg_hi:[0,1]
	;; [unrolled: 1-line block ×4, first 2 shown]
	v_pack_b32_f16 v0, v0, v42
	v_or_b32_sdwa v33, v40, v33 dst_sel:DWORD dst_unused:UNUSED_PAD src0_sel:DWORD src1_sel:WORD_0
	v_fma_f16 v28, v28, 2.0, -v29
	v_fma_f16 v32, v41, 2.0, -v31
	v_pk_fma_f16 v37, v37, 2.0, v39 op_sel_hi:[1,0,1] neg_lo:[0,0,1] neg_hi:[0,0,1]
	v_pk_fma_f16 v36, v36, 2.0, v1 op_sel_hi:[1,0,1] neg_lo:[0,0,1] neg_hi:[0,0,1]
	;; [unrolled: 1-line block ×4, first 2 shown]
	ds_write2_b32 v43, v33, v0 offset1:2
	ds_write2_b32 v44, v36, v1 offset1:2
	;; [unrolled: 1-line block ×5, first 2 shown]
	v_lshlrev_b32_e32 v33, 1, v10
	s_and_saveexec_b64 s[2:3], s[0:1]
	s_cbranch_execz .LBB0_19
; %bb.18:
	v_and_or_b32 v0, v33, s10, v38
	v_lshlrev_b32_e32 v0, 2, v0
	s_mov_b32 s10, 0x5040100
	v_add3_u32 v0, 0, v0, v13
	v_perm_b32 v1, v32, v28, s10
	v_perm_b32 v18, v31, v29, s10
	ds_write2_b32 v0, v1, v18 offset1:2
.LBB0_19:
	s_or_b64 exec, exec, s[2:3]
	v_add_u32_e32 v0, 0x600, v9
	v_add_u32_e32 v18, 0x800, v9
	s_waitcnt lgkmcnt(0)
	s_barrier
	ds_read_b32 v34, v11
	ds_read2_b32 v[0:1], v0 offset0:100 offset1:188
	ds_read2_b32 v[18:19], v18 offset0:148 offset1:236
	ds_read_b32 v35, v17
	ds_read_b32 v36, v21
	;; [unrolled: 1-line block ×4, first 2 shown]
	ds_read_b32 v40, v9 offset:3344
	s_and_saveexec_b64 s[2:3], s[0:1]
	s_cbranch_execz .LBB0_21
; %bb.20:
	v_add3_u32 v28, 0, v23, v13
	ds_read_b32 v28, v28
	ds_read_b32 v29, v9 offset:3696
	s_waitcnt lgkmcnt(1)
	v_lshrrev_b32_e32 v32, 16, v28
	s_waitcnt lgkmcnt(0)
	v_lshrrev_b32_e32 v31, 16, v29
.LBB0_21:
	s_or_b64 exec, exec, s[2:3]
	v_and_b32_e32 v39, 3, v6
	v_lshlrev_b32_e32 v41, 2, v39
	global_load_dword v41, v41, s[8:9] offset:8
	s_waitcnt lgkmcnt(7)
	v_lshrrev_b32_e32 v42, 16, v34
	s_movk_i32 s2, 0xf8
	s_movk_i32 s3, 0x1f8
	;; [unrolled: 1-line block ×3, first 2 shown]
	v_and_or_b32 v30, v30, s2, v39
	v_and_or_b32 v24, v24, s3, v39
	;; [unrolled: 1-line block ×5, first 2 shown]
	v_lshlrev_b32_e32 v30, 2, v30
	v_lshlrev_b32_e32 v24, 2, v24
	;; [unrolled: 1-line block ×5, first 2 shown]
	v_add3_u32 v30, 0, v30, v13
	s_waitcnt lgkmcnt(0)
	s_barrier
	v_add3_u32 v24, 0, v24, v13
	v_add3_u32 v25, 0, v25, v13
	;; [unrolled: 1-line block ×4, first 2 shown]
	s_waitcnt vmcnt(0)
	v_pk_mul_f16 v43, v41, v40 op_sel:[0,1]
	v_pk_mul_f16 v44, v41, v0 op_sel:[0,1]
	v_pk_fma_f16 v48, v41, v40, v43 op_sel:[0,0,1] op_sel_hi:[1,1,0]
	v_pk_fma_f16 v40, v41, v40, v43 op_sel:[0,0,1] op_sel_hi:[1,0,0] neg_lo:[1,0,0] neg_hi:[1,0,0]
	v_pk_fma_f16 v43, v41, v0, v44 op_sel:[0,0,1] op_sel_hi:[1,1,0]
	v_pk_fma_f16 v0, v41, v0, v44 op_sel:[0,0,1] op_sel_hi:[1,0,0] neg_lo:[1,0,0] neg_hi:[1,0,0]
	v_pk_mul_f16 v45, v41, v1 op_sel:[0,1]
	v_bfi_b32 v0, s11, v43, v0
	v_pk_add_f16 v0, v34, v0 neg_lo:[0,1] neg_hi:[0,1]
	v_pk_mul_f16 v46, v41, v18 op_sel:[0,1]
	v_pk_mul_f16 v47, v41, v19 op_sel:[0,1]
	v_lshrrev_b32_e32 v43, 16, v0
	v_pk_fma_f16 v44, v41, v1, v45 op_sel:[0,0,1] op_sel_hi:[1,1,0]
	v_pk_fma_f16 v1, v41, v1, v45 op_sel:[0,0,1] op_sel_hi:[1,0,0] neg_lo:[1,0,0] neg_hi:[1,0,0]
	v_pk_fma_f16 v45, v41, v18, v46 op_sel:[0,0,1] op_sel_hi:[1,1,0]
	v_pk_fma_f16 v18, v41, v18, v46 op_sel:[0,0,1] op_sel_hi:[1,0,0] neg_lo:[1,0,0] neg_hi:[1,0,0]
	;; [unrolled: 2-line block ×3, first 2 shown]
	v_fma_f16 v42, v42, 2.0, -v43
	v_bfi_b32 v40, s11, v48, v40
	v_bfi_b32 v1, s11, v44, v1
	;; [unrolled: 1-line block ×4, first 2 shown]
	v_fma_f16 v34, v34, 2.0, -v0
	v_lshlrev_b32_e32 v42, 16, v42
	v_pk_add_f16 v40, v38, v40 neg_lo:[0,1] neg_hi:[0,1]
	v_pk_add_f16 v1, v37, v1 neg_lo:[0,1] neg_hi:[0,1]
	;; [unrolled: 1-line block ×4, first 2 shown]
	v_or_b32_sdwa v34, v42, v34 dst_sel:DWORD dst_unused:UNUSED_PAD src0_sel:DWORD src1_sel:WORD_0
	v_pk_fma_f16 v38, v38, 2.0, v40 op_sel_hi:[1,0,1] neg_lo:[0,0,1] neg_hi:[0,0,1]
	v_pk_fma_f16 v37, v37, 2.0, v1 op_sel_hi:[1,0,1] neg_lo:[0,0,1] neg_hi:[0,0,1]
	;; [unrolled: 1-line block ×4, first 2 shown]
	ds_write2_b32 v30, v34, v0 offset1:4
	ds_write2_b32 v24, v37, v1 offset1:4
	;; [unrolled: 1-line block ×5, first 2 shown]
	s_and_saveexec_b64 s[2:3], s[0:1]
	s_cbranch_execz .LBB0_23
; %bb.22:
	v_mul_f16_sdwa v0, v31, v41 dst_sel:DWORD dst_unused:UNUSED_PAD src0_sel:DWORD src1_sel:WORD_1
	v_mul_f16_sdwa v18, v29, v41 dst_sel:DWORD dst_unused:UNUSED_PAD src0_sel:DWORD src1_sel:WORD_1
	v_fma_f16 v0, v29, v41, v0
	v_fma_f16 v18, v31, v41, -v18
	v_sub_f16_e32 v0, v28, v0
	v_sub_f16_e32 v18, v32, v18
	v_and_or_b32 v24, v33, s10, v39
	v_fma_f16 v1, v28, 2.0, -v0
	v_fma_f16 v19, v32, 2.0, -v18
	v_lshlrev_b32_e32 v24, 2, v24
	v_add3_u32 v24, 0, v24, v13
	v_pack_b32_f16 v1, v1, v19
	v_pack_b32_f16 v0, v0, v18
	ds_write2_b32 v24, v1, v0 offset1:4
.LBB0_23:
	s_or_b64 exec, exec, s[2:3]
	v_and_b32_e32 v19, 7, v6
	v_mul_u32_u24_e32 v0, 10, v19
	v_lshlrev_b32_e32 v0, 2, v0
	s_waitcnt lgkmcnt(0)
	s_barrier
	global_load_dwordx4 v[24:27], v0, s[8:9] offset:24
	global_load_dwordx4 v[28:31], v0, s[8:9] offset:40
	global_load_dwordx2 v[32:33], v0, s[8:9] offset:56
	ds_read_b32 v38, v11
	v_add3_u32 v18, 0, v23, v13
	v_add_u32_e32 v1, 0x800, v9
	v_add_u32_e32 v0, 0xa00, v9
	ds_read_b32 v23, v15
	ds_read_b32 v39, v17
	;; [unrolled: 1-line block ×4, first 2 shown]
	ds_read_b32 v42, v9 offset:3520
	ds_read_b32 v43, v18
	ds_read_u16 v44, v18 offset:2
	ds_read2_b32 v[34:35], v1 offset0:16 offset1:104
	ds_read2_b32 v[36:37], v0 offset0:64 offset1:152
	s_waitcnt lgkmcnt(8)
	v_lshrrev_b32_e32 v45, 16, v23
	s_waitcnt lgkmcnt(5)
	v_lshrrev_b32_e32 v48, 16, v41
	v_lshrrev_b32_e32 v46, 16, v39
	s_waitcnt lgkmcnt(4)
	v_lshrrev_b32_e32 v49, 16, v42
	;; [unrolled: 3-line block ×4, first 2 shown]
	v_lshrrev_b32_e32 v53, 16, v37
	s_mov_b32 s13, 0xb853
	s_movk_i32 s14, 0x3abb
	s_movk_i32 s15, 0x3853
	s_mov_b32 s3, 0xbb47
	s_movk_i32 s10, 0x36a6
	s_movk_i32 s11, 0x3b47
	s_mov_b32 s2, 0xbbeb
	s_mov_b32 s12, 0xb08e
	s_movk_i32 s16, 0x3beb
	s_mov_b32 s17, 0xba0c
	s_mov_b32 s18, 0xb93d
	;; [unrolled: 3-line block ×3, first 2 shown]
	s_movk_i32 s22, 0x3482
	s_barrier
	s_waitcnt vmcnt(2)
	v_mul_f16_sdwa v54, v24, v45 dst_sel:DWORD dst_unused:UNUSED_PAD src0_sel:WORD_1 src1_sel:DWORD
	v_mul_f16_sdwa v55, v24, v23 dst_sel:DWORD dst_unused:UNUSED_PAD src0_sel:WORD_1 src1_sel:DWORD
	;; [unrolled: 1-line block ×3, first 2 shown]
	v_fma_f16 v23, v24, v23, v54
	v_fma_f16 v24, v24, v45, -v55
	s_waitcnt vmcnt(1)
	v_mul_f16_sdwa v45, v44, v28 dst_sel:DWORD dst_unused:UNUSED_PAD src0_sel:DWORD src1_sel:WORD_1
	v_mul_f16_sdwa v56, v25, v46 dst_sel:DWORD dst_unused:UNUSED_PAD src0_sel:WORD_1 src1_sel:DWORD
	v_mul_f16_sdwa v57, v25, v39 dst_sel:DWORD dst_unused:UNUSED_PAD src0_sel:WORD_1 src1_sel:DWORD
	;; [unrolled: 1-line block ×4, first 2 shown]
	v_fma_f16 v41, v27, v41, v60
	s_waitcnt vmcnt(0)
	v_mul_f16_sdwa v60, v49, v33 dst_sel:DWORD dst_unused:UNUSED_PAD src0_sel:DWORD src1_sel:WORD_1
	v_fma_f16 v43, v28, v43, v45
	v_mul_f16_sdwa v45, v42, v33 dst_sel:DWORD dst_unused:UNUSED_PAD src0_sel:DWORD src1_sel:WORD_1
	v_mul_f16_sdwa v58, v26, v47 dst_sel:DWORD dst_unused:UNUSED_PAD src0_sel:WORD_1 src1_sel:DWORD
	v_mul_f16_sdwa v59, v26, v40 dst_sel:DWORD dst_unused:UNUSED_PAD src0_sel:WORD_1 src1_sel:DWORD
	v_fma_f16 v39, v25, v39, v56
	v_fma_f16 v25, v25, v46, -v57
	v_fma_f16 v28, v44, v28, -v55
	v_fma_f16 v42, v42, v33, v60
	v_fma_f16 v33, v49, v33, -v45
	v_add_f16_e32 v44, v23, v38
	v_add_f16_sdwa v45, v24, v38 dst_sel:DWORD dst_unused:UNUSED_PAD src0_sel:DWORD src1_sel:WORD_1
	v_fma_f16 v40, v26, v40, v58
	v_fma_f16 v26, v26, v47, -v59
	v_add_f16_e32 v44, v44, v39
	v_add_f16_e32 v45, v45, v25
	v_fma_f16 v27, v27, v48, -v54
	v_add_f16_e32 v44, v44, v40
	v_add_f16_e32 v45, v45, v26
	v_mul_f16_sdwa v46, v50, v29 dst_sel:DWORD dst_unused:UNUSED_PAD src0_sel:DWORD src1_sel:WORD_1
	v_mul_f16_sdwa v56, v34, v29 dst_sel:DWORD dst_unused:UNUSED_PAD src0_sel:DWORD src1_sel:WORD_1
	v_add_f16_e32 v44, v44, v41
	v_add_f16_e32 v45, v45, v27
	v_mul_f16_sdwa v47, v51, v30 dst_sel:DWORD dst_unused:UNUSED_PAD src0_sel:DWORD src1_sel:WORD_1
	v_mul_f16_sdwa v57, v35, v30 dst_sel:DWORD dst_unused:UNUSED_PAD src0_sel:DWORD src1_sel:WORD_1
	v_fma_f16 v34, v34, v29, v46
	v_fma_f16 v29, v50, v29, -v56
	v_add_f16_e32 v44, v44, v43
	v_add_f16_e32 v45, v45, v28
	v_mul_f16_sdwa v48, v52, v31 dst_sel:DWORD dst_unused:UNUSED_PAD src0_sel:DWORD src1_sel:WORD_1
	v_mul_f16_sdwa v54, v36, v31 dst_sel:DWORD dst_unused:UNUSED_PAD src0_sel:DWORD src1_sel:WORD_1
	v_fma_f16 v35, v35, v30, v47
	v_fma_f16 v30, v51, v30, -v57
	;; [unrolled: 6-line block ×3, first 2 shown]
	v_add_f16_e32 v44, v44, v35
	v_add_f16_e32 v45, v45, v30
	v_fma_f16 v37, v37, v32, v58
	v_fma_f16 v32, v53, v32, -v59
	v_add_f16_e32 v44, v44, v36
	v_add_f16_e32 v45, v45, v31
	;; [unrolled: 1-line block ×6, first 2 shown]
	v_sub_f16_e32 v23, v23, v42
	v_sub_f16_e32 v24, v24, v33
	v_add_f16_e32 v42, v44, v42
	v_add_f16_sdwa v33, v45, v33 dst_sel:WORD_1 dst_unused:UNUSED_PAD src0_sel:DWORD src1_sel:DWORD
	v_mul_f16_e32 v45, 0x3abb, v47
	v_or_b32_e32 v33, v33, v42
	v_mul_f16_e32 v42, 0xb853, v24
	v_mul_f16_e32 v49, 0xbb47, v24
	;; [unrolled: 1-line block ×9, first 2 shown]
	v_fma_f16 v44, v46, s14, v42
	v_fma_f16 v48, v23, s15, v45
	v_fma_f16 v42, v46, s14, -v42
	v_fma_f16 v45, v23, s13, v45
	v_fma_f16 v50, v46, s10, v49
	v_fma_f16 v52, v23, s11, v51
	v_fma_f16 v49, v46, s10, -v49
	v_fma_f16 v51, v23, s3, v51
	;; [unrolled: 4-line block ×3, first 2 shown]
	v_fma_f16 v58, v46, s18, v57
	v_fma_f16 v57, v46, s18, -v57
	v_fma_f16 v60, v46, s20, v24
	v_fma_f16 v24, v46, s20, -v24
	v_fma_f16 v46, v23, s19, v59
	v_fma_f16 v59, v23, s17, v59
	;; [unrolled: 1-line block ×4, first 2 shown]
	v_add_f16_e32 v44, v44, v38
	v_add_f16_sdwa v47, v48, v38 dst_sel:DWORD dst_unused:UNUSED_PAD src0_sel:DWORD src1_sel:WORD_1
	v_add_f16_e32 v42, v42, v38
	v_add_f16_sdwa v45, v45, v38 dst_sel:DWORD dst_unused:UNUSED_PAD src0_sel:DWORD src1_sel:WORD_1
	v_add_f16_e32 v48, v50, v38
	v_add_f16_sdwa v50, v52, v38 dst_sel:DWORD dst_unused:UNUSED_PAD src0_sel:DWORD src1_sel:WORD_1
	v_add_f16_e32 v49, v49, v38
	v_add_f16_sdwa v51, v51, v38 dst_sel:DWORD dst_unused:UNUSED_PAD src0_sel:DWORD src1_sel:WORD_1
	v_add_f16_e32 v52, v54, v38
	v_add_f16_sdwa v54, v56, v38 dst_sel:DWORD dst_unused:UNUSED_PAD src0_sel:DWORD src1_sel:WORD_1
	v_add_f16_e32 v53, v53, v38
	v_add_f16_sdwa v55, v55, v38 dst_sel:DWORD dst_unused:UNUSED_PAD src0_sel:DWORD src1_sel:WORD_1
	v_add_f16_e32 v56, v58, v38
	v_add_f16_sdwa v46, v46, v38 dst_sel:DWORD dst_unused:UNUSED_PAD src0_sel:DWORD src1_sel:WORD_1
	v_add_f16_e32 v57, v57, v38
	v_add_f16_sdwa v58, v59, v38 dst_sel:DWORD dst_unused:UNUSED_PAD src0_sel:DWORD src1_sel:WORD_1
	v_add_f16_e32 v59, v60, v38
	v_add_f16_sdwa v60, v61, v38 dst_sel:DWORD dst_unused:UNUSED_PAD src0_sel:DWORD src1_sel:WORD_1
	v_add_f16_e32 v24, v24, v38
	v_add_f16_sdwa v23, v23, v38 dst_sel:DWORD dst_unused:UNUSED_PAD src0_sel:DWORD src1_sel:WORD_1
	v_add_f16_e32 v38, v39, v37
	v_sub_f16_e32 v37, v39, v37
	v_add_f16_e32 v39, v25, v32
	v_sub_f16_e32 v25, v25, v32
	v_mul_f16_e32 v32, 0xbb47, v25
	v_fma_f16 v61, v38, s10, v32
	v_add_f16_e32 v44, v61, v44
	v_mul_f16_e32 v61, 0x36a6, v39
	v_fma_f16 v32, v38, s10, -v32
	v_add_f16_e32 v32, v32, v42
	v_fma_f16 v42, v37, s3, v61
	v_add_f16_e32 v42, v42, v45
	v_mul_f16_e32 v45, 0xba0c, v25
	v_fma_f16 v62, v37, s11, v61
	v_fma_f16 v61, v38, s18, v45
	v_add_f16_e32 v48, v61, v48
	v_mul_f16_e32 v61, 0xb93d, v39
	v_fma_f16 v45, v38, s18, -v45
	v_add_f16_e32 v45, v45, v49
	v_fma_f16 v49, v37, s17, v61
	v_add_f16_e32 v49, v49, v51
	v_mul_f16_e32 v51, 0x3482, v25
	v_add_f16_e32 v47, v62, v47
	v_fma_f16 v62, v37, s19, v61
	v_fma_f16 v61, v38, s20, v51
	v_add_f16_e32 v52, v61, v52
	v_mul_f16_e32 v61, 0xbbad, v39
	v_fma_f16 v51, v38, s20, -v51
	v_add_f16_e32 v51, v51, v53
	v_fma_f16 v53, v37, s22, v61
	v_add_f16_e32 v53, v53, v55
	v_mul_f16_e32 v55, 0x3beb, v25
	v_add_f16_e32 v50, v62, v50
	v_fma_f16 v62, v37, s21, v61
	v_fma_f16 v61, v38, s12, v55
	v_add_f16_e32 v56, v61, v56
	v_mul_f16_e32 v61, 0xb08e, v39
	v_fma_f16 v55, v38, s12, -v55
	v_add_f16_e32 v55, v55, v57
	v_fma_f16 v57, v37, s16, v61
	v_mul_f16_e32 v25, 0x3853, v25
	v_add_f16_e32 v57, v57, v58
	v_fma_f16 v58, v38, s14, v25
	v_mul_f16_e32 v39, 0x3abb, v39
	v_fma_f16 v25, v38, s14, -v25
	v_add_f16_e32 v54, v62, v54
	v_fma_f16 v62, v37, s2, v61
	v_add_f16_e32 v58, v58, v59
	v_fma_f16 v59, v37, s13, v39
	v_add_f16_e32 v24, v25, v24
	v_fma_f16 v25, v37, s15, v39
	v_add_f16_e32 v37, v26, v31
	v_sub_f16_e32 v26, v26, v31
	v_add_f16_e32 v23, v25, v23
	v_add_f16_e32 v25, v40, v36
	v_mul_f16_e32 v31, 0xbbeb, v26
	v_sub_f16_e32 v36, v40, v36
	v_fma_f16 v38, v25, s12, v31
	v_mul_f16_e32 v39, 0xb08e, v37
	v_add_f16_e32 v38, v38, v44
	v_fma_f16 v40, v36, s16, v39
	v_fma_f16 v31, v25, s12, -v31
	v_mul_f16_e32 v44, 0xbbad, v37
	v_add_f16_e32 v40, v40, v47
	v_add_f16_e32 v31, v31, v32
	v_fma_f16 v32, v36, s2, v39
	v_mul_f16_e32 v39, 0x3482, v26
	v_fma_f16 v47, v36, s21, v44
	v_fma_f16 v44, v36, s22, v44
	v_add_f16_e32 v32, v32, v42
	v_fma_f16 v42, v25, s20, v39
	v_fma_f16 v39, v25, s20, -v39
	v_add_f16_e32 v44, v44, v49
	v_mul_f16_e32 v49, 0x36a6, v37
	v_add_f16_e32 v47, v47, v50
	v_add_f16_e32 v39, v39, v45
	v_mul_f16_e32 v45, 0x3b47, v26
	v_fma_f16 v50, v36, s3, v49
	v_fma_f16 v49, v36, s11, v49
	v_add_f16_e32 v42, v42, v48
	v_fma_f16 v48, v25, s10, v45
	v_fma_f16 v45, v25, s10, -v45
	v_add_f16_e32 v49, v49, v53
	v_mul_f16_e32 v53, 0x3abb, v37
	v_add_f16_e32 v46, v62, v46
	v_add_f16_e32 v50, v50, v54
	;; [unrolled: 1-line block ×3, first 2 shown]
	v_mul_f16_e32 v51, 0xb853, v26
	v_fma_f16 v54, v36, s15, v53
	v_mul_f16_e32 v26, 0xba0c, v26
	v_add_f16_e32 v48, v48, v52
	v_fma_f16 v52, v25, s14, v51
	v_add_f16_e32 v46, v54, v46
	v_fma_f16 v51, v25, s14, -v51
	v_fma_f16 v54, v25, s18, v26
	v_mul_f16_e32 v37, 0xb93d, v37
	v_fma_f16 v25, v25, s18, -v26
	v_add_f16_e32 v24, v25, v24
	v_fma_f16 v25, v36, s17, v37
	v_add_f16_e32 v26, v27, v30
	v_sub_f16_e32 v27, v27, v30
	v_add_f16_e32 v23, v25, v23
	v_add_f16_e32 v25, v41, v35
	v_mul_f16_e32 v30, 0xba0c, v27
	v_add_f16_e32 v51, v51, v55
	v_fma_f16 v53, v36, s13, v53
	v_fma_f16 v55, v36, s19, v37
	v_sub_f16_e32 v35, v41, v35
	v_fma_f16 v36, v25, s18, v30
	v_mul_f16_e32 v37, 0xb93d, v26
	v_fma_f16 v30, v25, s18, -v30
	v_add_f16_e32 v30, v30, v31
	v_fma_f16 v31, v35, s17, v37
	v_add_f16_e32 v36, v36, v38
	v_fma_f16 v38, v35, s19, v37
	v_add_f16_e32 v31, v31, v32
	v_mul_f16_e32 v32, 0x3beb, v27
	v_add_f16_e32 v38, v38, v40
	v_fma_f16 v37, v25, s12, v32
	v_mul_f16_e32 v40, 0xb08e, v26
	v_fma_f16 v32, v25, s12, -v32
	v_add_f16_e32 v32, v32, v39
	v_fma_f16 v39, v35, s16, v40
	v_fma_f16 v41, v35, s2, v40
	v_add_f16_e32 v39, v39, v44
	v_mul_f16_e32 v44, 0x3abb, v26
	v_add_f16_e32 v41, v41, v47
	v_mul_f16_e32 v40, 0xb853, v27
	v_fma_f16 v47, v35, s15, v44
	v_fma_f16 v44, v35, s13, v44
	v_add_f16_e32 v37, v37, v42
	v_fma_f16 v42, v25, s14, v40
	v_fma_f16 v40, v25, s14, -v40
	v_add_f16_e32 v44, v44, v49
	v_mul_f16_e32 v49, 0xbbad, v26
	v_add_f16_e32 v47, v47, v50
	v_add_f16_e32 v40, v40, v45
	v_mul_f16_e32 v45, 0xb482, v27
	v_fma_f16 v50, v35, s22, v49
	v_mul_f16_e32 v27, 0x3b47, v27
	v_add_f16_e32 v42, v42, v48
	v_fma_f16 v48, v25, s20, v45
	v_add_f16_e32 v46, v50, v46
	v_fma_f16 v45, v25, s20, -v45
	v_fma_f16 v50, v25, s10, v27
	v_mul_f16_e32 v26, 0x36a6, v26
	v_fma_f16 v25, v25, s10, -v27
	v_add_f16_e32 v45, v45, v51
	v_fma_f16 v51, v35, s3, v26
	v_add_f16_e32 v24, v25, v24
	v_fma_f16 v25, v35, s11, v26
	v_add_f16_e32 v26, v28, v29
	v_sub_f16_e32 v28, v28, v29
	v_add_f16_e32 v23, v25, v23
	v_add_f16_e32 v25, v43, v34
	v_mul_f16_e32 v29, 0xb482, v28
	v_fma_f16 v49, v35, s21, v49
	v_sub_f16_e32 v27, v43, v34
	v_fma_f16 v34, v25, s20, v29
	v_mul_f16_e32 v35, 0xbbad, v26
	v_fma_f16 v29, v25, s20, -v29
	v_add_f16_e32 v29, v29, v30
	v_fma_f16 v30, v27, s21, v35
	v_add_f16_e32 v30, v30, v31
	v_mul_f16_e32 v31, 0x3853, v28
	v_add_f16_e32 v34, v34, v36
	v_fma_f16 v36, v27, s22, v35
	v_fma_f16 v35, v25, s14, v31
	v_add_f16_e32 v35, v35, v37
	v_mul_f16_e32 v37, 0x3abb, v26
	v_fma_f16 v31, v25, s14, -v31
	v_add_f16_e32 v36, v36, v38
	v_fma_f16 v38, v27, s13, v37
	v_add_f16_e32 v31, v31, v32
	v_fma_f16 v32, v27, s15, v37
	v_mul_f16_e32 v37, 0xba0c, v28
	v_add_f16_e32 v38, v38, v41
	v_add_f16_e32 v32, v32, v39
	v_fma_f16 v39, v25, s18, v37
	v_mul_f16_e32 v41, 0xb93d, v26
	v_fma_f16 v37, v25, s18, -v37
	v_add_f16_e32 v39, v39, v42
	v_fma_f16 v42, v27, s19, v41
	v_add_f16_e32 v37, v37, v40
	v_fma_f16 v40, v27, s17, v41
	v_mul_f16_e32 v41, 0x3b47, v28
	v_fma_f16 v43, v25, s10, v41
	v_fma_f16 v41, v25, s10, -v41
	v_mul_f16_e32 v28, 0xbbeb, v28
	v_add_f16_e32 v40, v40, v44
	v_mul_f16_e32 v44, 0x36a6, v26
	v_add_f16_e32 v41, v41, v45
	v_fma_f16 v45, v25, s12, v28
	v_mul_f16_e32 v26, 0xb08e, v26
	v_fma_f16 v25, v25, s12, -v28
	v_add_f16_e32 v24, v25, v24
	v_fma_f16 v25, v27, s2, v26
	v_add_f16_e32 v23, v25, v23
	v_lshrrev_b32_e32 v25, 3, v6
	v_mul_u32_u24_e32 v25, 0x58, v25
	v_add_f16_e32 v59, v59, v60
	v_or_b32_e32 v19, v25, v19
	v_add_f16_e32 v52, v52, v56
	v_add_f16_e32 v54, v54, v58
	;; [unrolled: 1-line block ×4, first 2 shown]
	v_fma_f16 v47, v27, s3, v44
	v_lshlrev_b32_e32 v19, 2, v19
	v_add_f16_e32 v53, v53, v57
	v_add_f16_e32 v48, v48, v52
	;; [unrolled: 1-line block ×5, first 2 shown]
	v_fma_f16 v47, v27, s16, v26
	v_add3_u32 v13, 0, v19, v13
	v_pack_b32_f16 v19, v34, v36
	v_add_f16_e32 v49, v49, v53
	v_add_f16_e32 v43, v43, v48
	v_fma_f16 v44, v27, s11, v44
	v_add_f16_e32 v45, v45, v50
	v_add_f16_e32 v47, v47, v51
	ds_write2_b32 v13, v33, v19 offset1:8
	v_pack_b32_f16 v19, v35, v38
	v_pack_b32_f16 v25, v39, v42
	v_add_f16_e32 v44, v44, v49
	ds_write2_b32 v13, v19, v25 offset0:16 offset1:24
	v_pack_b32_f16 v19, v43, v46
	v_pack_b32_f16 v25, v45, v47
	ds_write2_b32 v13, v19, v25 offset0:32 offset1:40
	v_pack_b32_f16 v19, v24, v23
	v_pack_b32_f16 v23, v41, v44
	ds_write2_b32 v13, v19, v23 offset0:48 offset1:56
	v_pack_b32_f16 v19, v37, v40
	v_pack_b32_f16 v23, v31, v32
	ds_write2_b32 v13, v19, v23 offset0:64 offset1:72
	v_pack_b32_f16 v19, v29, v30
	ds_write_b32 v13, v19 offset:320
	v_mul_u32_u24_e32 v13, 10, v6
	v_lshlrev_b32_e32 v13, 2, v13
	s_waitcnt lgkmcnt(0)
	s_barrier
	global_load_dwordx4 v[24:27], v13, s[8:9] offset:344
	global_load_dwordx4 v[28:31], v13, s[8:9] offset:360
	global_load_dwordx2 v[32:33], v13, s[8:9] offset:376
	ds_read_b32 v13, v11
	ds_read2_b32 v[34:35], v1 offset0:16 offset1:104
	ds_read_b32 v17, v17
	ds_read_b32 v21, v21
	ds_read_b32 v22, v22
	ds_read_b32 v23, v18
	ds_read2_b32 v[18:19], v0 offset0:64 offset1:152
	ds_read_b32 v15, v15
	ds_read_b32 v36, v9 offset:3520
	s_waitcnt lgkmcnt(7)
	v_lshrrev_b32_e32 v37, 16, v34
	v_lshrrev_b32_e32 v38, 16, v35
	s_waitcnt lgkmcnt(2)
	v_lshrrev_b32_e32 v39, 16, v18
	s_waitcnt lgkmcnt(1)
	v_lshrrev_b32_e32 v42, 16, v15
	v_lshrrev_b32_e32 v40, 16, v19
	s_waitcnt lgkmcnt(0)
	v_lshrrev_b32_e32 v41, 16, v36
	s_barrier
	s_waitcnt vmcnt(2)
	v_mul_f16_sdwa v43, v24, v42 dst_sel:DWORD dst_unused:UNUSED_PAD src0_sel:WORD_1 src1_sel:DWORD
	v_fma_f16 v43, v24, v15, v43
	v_mul_f16_sdwa v15, v24, v15 dst_sel:DWORD dst_unused:UNUSED_PAD src0_sel:WORD_1 src1_sel:DWORD
	v_fma_f16 v15, v24, v42, -v15
	v_lshrrev_b32_e32 v24, 16, v17
	v_mul_f16_sdwa v42, v25, v24 dst_sel:DWORD dst_unused:UNUSED_PAD src0_sel:WORD_1 src1_sel:DWORD
	v_fma_f16 v42, v25, v17, v42
	v_mul_f16_sdwa v17, v25, v17 dst_sel:DWORD dst_unused:UNUSED_PAD src0_sel:WORD_1 src1_sel:DWORD
	v_fma_f16 v17, v25, v24, -v17
	v_lshrrev_b32_e32 v24, 16, v21
	v_mul_f16_sdwa v25, v26, v24 dst_sel:DWORD dst_unused:UNUSED_PAD src0_sel:WORD_1 src1_sel:DWORD
	v_fma_f16 v25, v26, v21, v25
	v_mul_f16_sdwa v21, v26, v21 dst_sel:DWORD dst_unused:UNUSED_PAD src0_sel:WORD_1 src1_sel:DWORD
	v_fma_f16 v21, v26, v24, -v21
	v_lshrrev_b32_e32 v24, 16, v22
	v_mul_f16_sdwa v26, v27, v24 dst_sel:DWORD dst_unused:UNUSED_PAD src0_sel:WORD_1 src1_sel:DWORD
	v_fma_f16 v26, v27, v22, v26
	v_mul_f16_sdwa v22, v27, v22 dst_sel:DWORD dst_unused:UNUSED_PAD src0_sel:WORD_1 src1_sel:DWORD
	v_fma_f16 v22, v27, v24, -v22
	v_lshrrev_b32_e32 v24, 16, v23
	s_waitcnt vmcnt(1)
	v_mul_f16_sdwa v27, v28, v24 dst_sel:DWORD dst_unused:UNUSED_PAD src0_sel:WORD_1 src1_sel:DWORD
	v_fma_f16 v27, v28, v23, v27
	v_mul_f16_sdwa v23, v28, v23 dst_sel:DWORD dst_unused:UNUSED_PAD src0_sel:WORD_1 src1_sel:DWORD
	v_fma_f16 v23, v28, v24, -v23
	v_mul_f16_sdwa v24, v37, v29 dst_sel:DWORD dst_unused:UNUSED_PAD src0_sel:DWORD src1_sel:WORD_1
	v_mul_f16_sdwa v28, v34, v29 dst_sel:DWORD dst_unused:UNUSED_PAD src0_sel:DWORD src1_sel:WORD_1
	v_fma_f16 v24, v34, v29, v24
	v_fma_f16 v28, v37, v29, -v28
	v_mul_f16_sdwa v29, v38, v30 dst_sel:DWORD dst_unused:UNUSED_PAD src0_sel:DWORD src1_sel:WORD_1
	v_mul_f16_sdwa v34, v35, v30 dst_sel:DWORD dst_unused:UNUSED_PAD src0_sel:DWORD src1_sel:WORD_1
	v_fma_f16 v29, v35, v30, v29
	v_fma_f16 v30, v38, v30, -v34
	v_mul_f16_sdwa v34, v39, v31 dst_sel:DWORD dst_unused:UNUSED_PAD src0_sel:DWORD src1_sel:WORD_1
	v_fma_f16 v34, v18, v31, v34
	v_mul_f16_sdwa v18, v18, v31 dst_sel:DWORD dst_unused:UNUSED_PAD src0_sel:DWORD src1_sel:WORD_1
	v_fma_f16 v18, v39, v31, -v18
	s_waitcnt vmcnt(0)
	v_mul_f16_sdwa v31, v40, v32 dst_sel:DWORD dst_unused:UNUSED_PAD src0_sel:DWORD src1_sel:WORD_1
	v_fma_f16 v31, v19, v32, v31
	v_mul_f16_sdwa v19, v19, v32 dst_sel:DWORD dst_unused:UNUSED_PAD src0_sel:DWORD src1_sel:WORD_1
	v_fma_f16 v19, v40, v32, -v19
	v_mul_f16_sdwa v32, v41, v33 dst_sel:DWORD dst_unused:UNUSED_PAD src0_sel:DWORD src1_sel:WORD_1
	v_mul_f16_sdwa v35, v36, v33 dst_sel:DWORD dst_unused:UNUSED_PAD src0_sel:DWORD src1_sel:WORD_1
	v_fma_f16 v32, v36, v33, v32
	v_fma_f16 v33, v41, v33, -v35
	v_add_f16_e32 v35, v43, v13
	v_add_f16_sdwa v36, v15, v13 dst_sel:DWORD dst_unused:UNUSED_PAD src0_sel:DWORD src1_sel:WORD_1
	v_add_f16_e32 v35, v35, v42
	v_add_f16_e32 v36, v36, v17
	;; [unrolled: 1-line block ×17, first 2 shown]
	v_add_f16_sdwa v36, v36, v33 dst_sel:WORD_1 dst_unused:UNUSED_PAD src0_sel:DWORD src1_sel:DWORD
	v_add_f16_e32 v37, v15, v33
	v_sub_f16_e32 v15, v15, v33
	v_or_b32_e32 v35, v36, v35
	v_add_f16_e32 v36, v43, v32
	v_sub_f16_e32 v32, v43, v32
	v_mul_f16_e32 v33, 0xb853, v15
	v_mul_f16_e32 v39, 0x3abb, v37
	;; [unrolled: 1-line block ×10, first 2 shown]
	v_fma_f16 v38, v36, s14, v33
	v_fma_f16 v40, v32, s15, v39
	v_fma_f16 v33, v36, s14, -v33
	v_fma_f16 v39, v32, s13, v39
	v_fma_f16 v43, v36, s10, v41
	v_fma_f16 v45, v32, s11, v44
	v_fma_f16 v41, v36, s10, -v41
	v_fma_f16 v44, v32, s3, v44
	;; [unrolled: 4-line block ×5, first 2 shown]
	v_add_f16_e32 v36, v17, v19
	v_sub_f16_e32 v17, v17, v19
	v_add_f16_e32 v38, v38, v13
	v_add_f16_sdwa v40, v40, v13 dst_sel:DWORD dst_unused:UNUSED_PAD src0_sel:DWORD src1_sel:WORD_1
	v_add_f16_e32 v33, v33, v13
	v_add_f16_sdwa v39, v39, v13 dst_sel:DWORD dst_unused:UNUSED_PAD src0_sel:DWORD src1_sel:WORD_1
	;; [unrolled: 2-line block ×10, first 2 shown]
	v_add_f16_e32 v32, v42, v31
	v_mul_f16_e32 v19, 0xbb47, v17
	v_fma_f16 v37, v32, s10, v19
	v_sub_f16_e32 v31, v42, v31
	v_add_f16_e32 v37, v37, v38
	v_mul_f16_e32 v38, 0x36a6, v36
	v_fma_f16 v19, v32, s10, -v19
	v_fma_f16 v42, v31, s11, v38
	v_add_f16_e32 v19, v19, v33
	v_fma_f16 v33, v31, s3, v38
	v_mul_f16_e32 v38, 0xba0c, v17
	v_add_f16_e32 v40, v42, v40
	v_add_f16_e32 v33, v33, v39
	v_fma_f16 v39, v32, s18, v38
	v_mul_f16_e32 v42, 0xb93d, v36
	v_fma_f16 v38, v32, s18, -v38
	v_add_f16_e32 v39, v39, v43
	v_fma_f16 v43, v31, s19, v42
	v_add_f16_e32 v38, v38, v41
	v_fma_f16 v41, v31, s17, v42
	v_mul_f16_e32 v42, 0x3482, v17
	v_add_f16_e32 v43, v43, v45
	v_add_f16_e32 v41, v41, v44
	v_fma_f16 v44, v32, s20, v42
	v_mul_f16_e32 v45, 0xbbad, v36
	v_fma_f16 v42, v32, s20, -v42
	v_add_f16_e32 v44, v44, v47
	v_fma_f16 v47, v31, s21, v45
	v_add_f16_e32 v42, v42, v46
	v_fma_f16 v45, v31, s22, v45
	v_mul_f16_e32 v46, 0x3beb, v17
	v_add_f16_e32 v47, v47, v49
	v_add_f16_e32 v45, v45, v48
	v_fma_f16 v48, v32, s12, v46
	v_mul_f16_e32 v49, 0xb08e, v36
	v_fma_f16 v46, v32, s12, -v46
	v_mul_f16_e32 v17, 0x3853, v17
	v_add_f16_e32 v48, v48, v51
	v_fma_f16 v51, v31, s2, v49
	v_add_f16_e32 v46, v46, v50
	v_fma_f16 v49, v31, s16, v49
	v_fma_f16 v50, v32, s14, v17
	v_mul_f16_e32 v36, 0x3abb, v36
	v_fma_f16 v17, v32, s14, -v17
	v_add_f16_e32 v49, v49, v52
	v_fma_f16 v52, v31, s13, v36
	v_add_f16_e32 v15, v17, v15
	v_fma_f16 v17, v31, s15, v36
	v_add_f16_e32 v31, v21, v18
	v_sub_f16_e32 v18, v21, v18
	v_add_f16_e32 v13, v17, v13
	v_add_f16_e32 v17, v25, v34
	v_mul_f16_e32 v21, 0xbbeb, v18
	v_sub_f16_e32 v25, v25, v34
	v_fma_f16 v32, v17, s12, v21
	v_mul_f16_e32 v34, 0xb08e, v31
	v_fma_f16 v21, v17, s12, -v21
	v_add_f16_e32 v19, v21, v19
	v_fma_f16 v21, v25, s2, v34
	v_add_f16_e32 v21, v21, v33
	v_mul_f16_e32 v33, 0x3482, v18
	v_fma_f16 v36, v25, s16, v34
	v_fma_f16 v34, v17, s20, v33
	v_fma_f16 v33, v17, s20, -v33
	v_add_f16_e32 v32, v32, v37
	v_mul_f16_e32 v37, 0xbbad, v31
	v_add_f16_e32 v33, v33, v38
	v_mul_f16_e32 v38, 0x3b47, v18
	v_add_f16_e32 v36, v36, v40
	v_add_f16_e32 v34, v34, v39
	v_fma_f16 v39, v25, s21, v37
	v_fma_f16 v37, v25, s22, v37
	;; [unrolled: 1-line block ×3, first 2 shown]
	v_fma_f16 v38, v17, s10, -v38
	v_add_f16_e32 v37, v37, v41
	v_mul_f16_e32 v41, 0x36a6, v31
	v_add_f16_e32 v38, v38, v42
	v_mul_f16_e32 v42, 0xb853, v18
	v_add_f16_e32 v39, v39, v43
	v_add_f16_e32 v40, v40, v44
	v_fma_f16 v43, v25, s3, v41
	v_fma_f16 v41, v25, s11, v41
	;; [unrolled: 1-line block ×3, first 2 shown]
	v_fma_f16 v42, v17, s14, -v42
	v_mul_f16_e32 v18, 0xba0c, v18
	v_add_f16_e32 v41, v41, v45
	v_mul_f16_e32 v45, 0x3abb, v31
	v_add_f16_e32 v42, v42, v46
	v_fma_f16 v46, v17, s18, v18
	v_mul_f16_e32 v31, 0xb93d, v31
	v_fma_f16 v17, v17, s18, -v18
	v_add_f16_e32 v15, v17, v15
	v_fma_f16 v17, v25, s17, v31
	v_add_f16_e32 v18, v22, v30
	v_sub_f16_e32 v22, v22, v30
	v_add_f16_e32 v43, v43, v47
	v_add_f16_e32 v44, v44, v48
	v_fma_f16 v47, v25, s15, v45
	v_fma_f16 v45, v25, s13, v45
	;; [unrolled: 1-line block ×3, first 2 shown]
	v_add_f16_e32 v13, v17, v13
	v_add_f16_e32 v17, v26, v29
	v_sub_f16_e32 v25, v26, v29
	v_mul_f16_e32 v26, 0xba0c, v22
	v_fma_f16 v29, v17, s18, v26
	v_mul_f16_e32 v30, 0xb93d, v18
	v_fma_f16 v26, v17, s18, -v26
	v_add_f16_e32 v19, v26, v19
	v_fma_f16 v26, v25, s17, v30
	v_add_f16_e32 v21, v26, v21
	v_mul_f16_e32 v26, 0x3beb, v22
	v_fma_f16 v31, v25, s19, v30
	v_fma_f16 v30, v17, s12, v26
	v_fma_f16 v26, v17, s12, -v26
	v_add_f16_e32 v29, v29, v32
	v_mul_f16_e32 v32, 0xb08e, v18
	v_add_f16_e32 v26, v26, v33
	v_mul_f16_e32 v33, 0xb853, v22
	v_add_f16_e32 v31, v31, v36
	v_add_f16_e32 v30, v30, v34
	v_fma_f16 v34, v25, s2, v32
	v_fma_f16 v32, v25, s16, v32
	;; [unrolled: 1-line block ×3, first 2 shown]
	v_fma_f16 v33, v17, s14, -v33
	v_add_f16_e32 v32, v32, v37
	v_mul_f16_e32 v37, 0x3abb, v18
	v_add_f16_e32 v33, v33, v38
	v_mul_f16_e32 v38, 0xb482, v22
	v_add_f16_e32 v34, v34, v39
	v_add_f16_e32 v36, v36, v40
	v_fma_f16 v39, v25, s15, v37
	v_fma_f16 v37, v25, s13, v37
	v_fma_f16 v40, v17, s20, v38
	v_fma_f16 v38, v17, s20, -v38
	v_mul_f16_e32 v22, 0x3b47, v22
	v_add_f16_e32 v37, v37, v41
	v_mul_f16_e32 v41, 0xbbad, v18
	v_add_f16_e32 v38, v38, v42
	v_fma_f16 v42, v17, s10, v22
	v_mul_f16_e32 v18, 0x36a6, v18
	v_fma_f16 v17, v17, s10, -v22
	v_add_f16_e32 v40, v40, v44
	v_fma_f16 v44, v25, s3, v18
	v_add_f16_e32 v15, v17, v15
	v_fma_f16 v17, v25, s11, v18
	v_add_f16_e32 v18, v23, v28
	v_sub_f16_e32 v23, v23, v28
	v_add_f16_e32 v13, v17, v13
	v_add_f16_e32 v17, v27, v24
	v_sub_f16_e32 v22, v27, v24
	v_mul_f16_e32 v24, 0xb482, v23
	v_add_f16_e32 v39, v39, v43
	v_fma_f16 v43, v25, s22, v41
	v_fma_f16 v41, v25, s21, v41
	;; [unrolled: 1-line block ×3, first 2 shown]
	v_mul_f16_e32 v27, 0xbbad, v18
	v_fma_f16 v24, v17, s20, -v24
	v_add_f16_e32 v19, v24, v19
	v_fma_f16 v24, v22, s21, v27
	v_add_f16_e32 v21, v24, v21
	v_mul_f16_e32 v24, 0x3853, v23
	v_add_f16_e32 v25, v25, v29
	v_fma_f16 v28, v22, s22, v27
	v_fma_f16 v27, v17, s14, v24
	v_mul_f16_e32 v29, 0x3abb, v18
	v_fma_f16 v24, v17, s14, -v24
	v_add_f16_e32 v27, v27, v30
	v_fma_f16 v30, v22, s13, v29
	v_add_f16_e32 v24, v24, v26
	v_fma_f16 v26, v22, s15, v29
	v_mul_f16_e32 v29, 0xba0c, v23
	v_add_f16_e32 v28, v28, v31
	v_fma_f16 v31, v17, s18, v29
	v_fma_f16 v29, v17, s18, -v29
	v_add_f16_e32 v26, v26, v32
	v_mul_f16_e32 v32, 0xb93d, v18
	v_add_f16_e32 v29, v29, v33
	v_mul_f16_e32 v33, 0x3b47, v23
	v_add_f16_e32 v30, v30, v34
	v_add_f16_e32 v31, v31, v36
	v_fma_f16 v34, v22, s19, v32
	v_fma_f16 v32, v22, s17, v32
	;; [unrolled: 1-line block ×3, first 2 shown]
	v_fma_f16 v33, v17, s10, -v33
	v_mul_f16_e32 v23, 0xbbeb, v23
	v_add_f16_e32 v45, v45, v49
	v_add_f16_e32 v32, v32, v37
	v_mul_f16_e32 v37, 0x36a6, v18
	v_add_f16_e32 v33, v33, v38
	v_fma_f16 v38, v17, s12, v23
	v_mul_f16_e32 v18, 0xb08e, v18
	v_fma_f16 v17, v17, s12, -v23
	v_add_f16_e32 v51, v51, v53
	v_add_f16_e32 v50, v50, v54
	v_add_f16_e32 v52, v52, v55
	v_add_f16_e32 v41, v41, v45
	v_add_f16_e32 v34, v34, v39
	v_fma_f16 v39, v22, s3, v37
	v_fma_f16 v37, v22, s11, v37
	v_add_f16_e32 v15, v17, v15
	v_fma_f16 v17, v22, s2, v18
	v_add_f16_e32 v47, v47, v51
	v_add_f16_e32 v46, v46, v50
	;; [unrolled: 1-line block ×9, first 2 shown]
	v_fma_f16 v40, v22, s16, v18
	v_pack_b32_f16 v17, v25, v28
	v_pack_b32_f16 v13, v15, v13
	;; [unrolled: 1-line block ×3, first 2 shown]
	v_add_f16_e32 v39, v39, v43
	v_add_f16_e32 v38, v38, v42
	;; [unrolled: 1-line block ×3, first 2 shown]
	ds_write2_b32 v9, v35, v17 offset1:88
	v_pack_b32_f16 v17, v27, v30
	v_pack_b32_f16 v18, v31, v34
	v_add_u32_e32 v22, 0x200, v9
	ds_write2_b32 v1, v13, v15 offset0:16 offset1:104
	v_pack_b32_f16 v1, v29, v32
	v_pack_b32_f16 v13, v24, v26
	ds_write2_b32 v22, v17, v18 offset0:48 offset1:136
	v_pack_b32_f16 v17, v36, v39
	v_pack_b32_f16 v18, v38, v40
	v_add_u32_e32 v22, 0x400, v9
	ds_write2_b32 v0, v1, v13 offset0:64 offset1:152
	v_pack_b32_f16 v0, v19, v21
	ds_write2_b32 v22, v17, v18 offset0:96 offset1:184
	ds_write_b32 v9, v0 offset:3520
	s_waitcnt lgkmcnt(0)
	s_barrier
	ds_read_b32 v9, v11
	v_sub_u32_e32 v0, v20, v7
	v_cmp_ne_u32_e64 s[2:3], 0, v6
                                        ; implicit-def: $vgpr13
                                        ; implicit-def: $vgpr1
                                        ; implicit-def: $vgpr7
	s_and_saveexec_b64 s[10:11], s[2:3]
	s_xor_b64 s[2:3], exec, s[10:11]
	s_cbranch_execz .LBB0_25
; %bb.24:
	v_mov_b32_e32 v7, 0
	v_lshl_add_u64 v[18:19], v[6:7], 2, s[8:9]
	global_load_dword v13, v[18:19], off offset:3864
	ds_read_b32 v1, v0 offset:3872
	s_waitcnt lgkmcnt(0)
	v_add_f16_sdwa v7, v1, v9 dst_sel:DWORD dst_unused:UNUSED_PAD src0_sel:WORD_1 src1_sel:WORD_1
	v_sub_f16_e32 v17, v9, v1
	v_add_f16_e32 v15, v1, v9
	v_sub_f16_sdwa v1, v9, v1 dst_sel:DWORD dst_unused:UNUSED_PAD src0_sel:WORD_1 src1_sel:WORD_1
	v_mul_f16_e32 v9, 0.5, v7
	v_mul_f16_e32 v17, 0.5, v17
	;; [unrolled: 1-line block ×3, first 2 shown]
	s_waitcnt vmcnt(0)
	v_lshrrev_b32_e32 v7, 16, v13
	v_mul_f16_e32 v18, v7, v17
	v_fma_f16 v19, v9, v7, v1
	v_fma_f16 v21, v9, v7, -v1
	v_fma_f16 v1, v15, 0.5, v18
	v_fma_f16 v15, v15, 0.5, -v18
	v_fma_f16 v18, v13, v9, v1
	v_fma_f16 v7, -v13, v17, v19
	v_fma_f16 v1, -v13, v9, v15
	ds_write_b16 v11, v18
	v_fma_f16 v13, -v13, v17, v21
                                        ; implicit-def: $vgpr9
.LBB0_25:
	s_andn2_saveexec_b64 s[2:3], s[2:3]
	s_cbranch_execz .LBB0_27
; %bb.26:
	ds_read_u16 v13, v20 offset:1938
	s_waitcnt lgkmcnt(1)
	v_add_f16_sdwa v15, v9, v9 dst_sel:DWORD dst_unused:UNUSED_PAD src0_sel:WORD_1 src1_sel:DWORD
	v_sub_f16_sdwa v1, v9, v9 dst_sel:DWORD dst_unused:UNUSED_PAD src0_sel:DWORD src1_sel:WORD_1
	v_mov_b32_e32 v7, 0
	ds_write_b16 v11, v15
	s_waitcnt lgkmcnt(1)
	v_xor_b32_e32 v9, 0x8000, v13
	v_mov_b32_e32 v13, 0
	ds_write_b16 v20, v9 offset:1938
.LBB0_27:
	s_or_b64 exec, exec, s[2:3]
	s_waitcnt lgkmcnt(0)
	v_mov_b32_e32 v9, 0
	v_lshl_add_u64 v[18:19], v[8:9], 2, s[8:9]
	global_load_dword v21, v[18:19], off offset:3864
	v_mov_b32_e32 v17, v9
	v_lshl_add_u64 v[18:19], v[16:17], 2, s[8:9]
	global_load_dword v17, v[18:19], off offset:3864
	;; [unrolled: 3-line block ×3, first 2 shown]
	s_mov_b32 s2, 0x5040100
	v_perm_b32 v1, v13, v1, s2
	v_mov_b32_e32 v13, v9
	ds_write_b16 v11, v7 offset:2
	v_lshl_add_u32 v7, v8, 2, v20
	ds_write_b32 v0, v1 offset:3872
	v_lshl_add_u64 v[18:19], v[12:13], 2, s[8:9]
	ds_read_b32 v1, v7
	ds_read_b32 v8, v0 offset:3520
	global_load_dword v11, v[18:19], off offset:3864
	s_mov_b32 s10, 0xffff
	v_lshl_add_u32 v13, v16, 2, v20
	v_lshl_add_u32 v12, v12, 2, v20
	s_waitcnt lgkmcnt(0)
	v_pk_add_f16 v16, v1, v8 neg_lo:[0,1] neg_hi:[0,1]
	v_pk_add_f16 v1, v1, v8
	s_nop 0
	v_bfi_b32 v8, s10, v16, v1
	v_bfi_b32 v1, s10, v1, v16
	v_pk_mul_f16 v8, v8, 0.5 op_sel_hi:[1,0]
	v_pk_mul_f16 v1, v1, 0.5 op_sel_hi:[1,0]
	s_waitcnt vmcnt(3)
	v_pk_mul_f16 v18, v21, v8 op_sel_hi:[0,1]
	v_pk_fma_f16 v16, v21, v8, v1 op_sel:[1,0,0]
	v_pk_fma_f16 v19, v21, v8, v1 op_sel:[1,0,0] neg_lo:[1,0,0] neg_hi:[1,0,0]
	v_pk_fma_f16 v1, v21, v8, v1 op_sel:[1,0,0] neg_lo:[0,0,1] neg_hi:[0,0,1]
	v_pk_add_f16 v8, v16, v18 op_sel:[0,1] op_sel_hi:[1,0]
	v_pk_add_f16 v16, v16, v18 op_sel:[0,1] op_sel_hi:[1,0] neg_lo:[0,1] neg_hi:[0,1]
	v_pk_add_f16 v19, v19, v18 op_sel:[0,1] op_sel_hi:[1,0] neg_lo:[0,1] neg_hi:[0,1]
	;; [unrolled: 1-line block ×3, first 2 shown]
	v_bfi_b32 v8, s10, v8, v16
	v_bfi_b32 v1, s10, v19, v1
	ds_write_b32 v7, v8
	ds_write_b32 v0, v1 offset:3520
	ds_read_b32 v1, v13
	ds_read_b32 v7, v0 offset:3168
	v_lshl_add_u32 v8, v14, 2, v20
	s_waitcnt lgkmcnt(0)
	v_pk_add_f16 v14, v1, v7 neg_lo:[0,1] neg_hi:[0,1]
	v_pk_add_f16 v1, v1, v7
	s_nop 0
	v_bfi_b32 v7, s10, v14, v1
	v_bfi_b32 v1, s10, v1, v14
	v_pk_mul_f16 v7, v7, 0.5 op_sel_hi:[1,0]
	v_pk_mul_f16 v1, v1, 0.5 op_sel_hi:[1,0]
	s_waitcnt vmcnt(2)
	v_pk_mul_f16 v16, v17, v7 op_sel_hi:[0,1]
	v_pk_fma_f16 v14, v17, v7, v1 op_sel:[1,0,0]
	v_pk_fma_f16 v18, v17, v7, v1 op_sel:[1,0,0] neg_lo:[1,0,0] neg_hi:[1,0,0]
	v_pk_fma_f16 v1, v17, v7, v1 op_sel:[1,0,0] neg_lo:[0,0,1] neg_hi:[0,0,1]
	v_pk_add_f16 v7, v14, v16 op_sel:[0,1] op_sel_hi:[1,0]
	v_pk_add_f16 v14, v14, v16 op_sel:[0,1] op_sel_hi:[1,0] neg_lo:[0,1] neg_hi:[0,1]
	v_pk_add_f16 v17, v18, v16 op_sel:[0,1] op_sel_hi:[1,0] neg_lo:[0,1] neg_hi:[0,1]
	;; [unrolled: 1-line block ×3, first 2 shown]
	v_bfi_b32 v7, s10, v7, v14
	v_bfi_b32 v1, s10, v17, v1
	ds_write_b32 v13, v7
	ds_write_b32 v0, v1 offset:3168
	ds_read_b32 v1, v8
	ds_read_b32 v7, v0 offset:2816
	s_waitcnt lgkmcnt(0)
	v_pk_add_f16 v13, v1, v7 neg_lo:[0,1] neg_hi:[0,1]
	v_pk_add_f16 v1, v1, v7
	s_nop 0
	v_bfi_b32 v7, s10, v13, v1
	v_bfi_b32 v1, s10, v1, v13
	v_pk_mul_f16 v7, v7, 0.5 op_sel_hi:[1,0]
	v_pk_mul_f16 v1, v1, 0.5 op_sel_hi:[1,0]
	s_waitcnt vmcnt(1)
	v_pk_mul_f16 v14, v15, v7 op_sel_hi:[0,1]
	v_pk_fma_f16 v13, v15, v7, v1 op_sel:[1,0,0]
	v_pk_fma_f16 v16, v15, v7, v1 op_sel:[1,0,0] neg_lo:[1,0,0] neg_hi:[1,0,0]
	v_pk_fma_f16 v1, v15, v7, v1 op_sel:[1,0,0] neg_lo:[0,0,1] neg_hi:[0,0,1]
	v_pk_add_f16 v7, v13, v14 op_sel:[0,1] op_sel_hi:[1,0]
	v_pk_add_f16 v13, v13, v14 op_sel:[0,1] op_sel_hi:[1,0] neg_lo:[0,1] neg_hi:[0,1]
	v_pk_add_f16 v15, v16, v14 op_sel:[0,1] op_sel_hi:[1,0] neg_lo:[0,1] neg_hi:[0,1]
	;; [unrolled: 1-line block ×3, first 2 shown]
	v_bfi_b32 v7, s10, v7, v13
	v_bfi_b32 v1, s10, v15, v1
	ds_write_b32 v8, v7
	ds_write_b32 v0, v1 offset:2816
	ds_read_b32 v1, v12
	ds_read_b32 v7, v0 offset:2464
	s_waitcnt lgkmcnt(0)
	v_pk_add_f16 v8, v1, v7 neg_lo:[0,1] neg_hi:[0,1]
	v_pk_add_f16 v1, v1, v7
	s_nop 0
	v_bfi_b32 v7, s10, v8, v1
	v_bfi_b32 v1, s10, v1, v8
	v_pk_mul_f16 v7, v7, 0.5 op_sel_hi:[1,0]
	v_pk_mul_f16 v1, v1, 0.5 op_sel_hi:[1,0]
	s_waitcnt vmcnt(0)
	v_pk_mul_f16 v13, v11, v7 op_sel_hi:[0,1]
	v_pk_fma_f16 v8, v11, v7, v1 op_sel:[1,0,0]
	v_pk_fma_f16 v14, v11, v7, v1 op_sel:[1,0,0] neg_lo:[1,0,0] neg_hi:[1,0,0]
	v_pk_fma_f16 v1, v11, v7, v1 op_sel:[1,0,0] neg_lo:[0,0,1] neg_hi:[0,0,1]
	v_pk_add_f16 v7, v8, v13 op_sel:[0,1] op_sel_hi:[1,0]
	v_pk_add_f16 v8, v8, v13 op_sel:[0,1] op_sel_hi:[1,0] neg_lo:[0,1] neg_hi:[0,1]
	v_pk_add_f16 v11, v14, v13 op_sel:[0,1] op_sel_hi:[1,0] neg_lo:[0,1] neg_hi:[0,1]
	;; [unrolled: 1-line block ×3, first 2 shown]
	v_bfi_b32 v7, s10, v7, v8
	v_bfi_b32 v1, s10, v11, v1
	ds_write_b32 v12, v7
	ds_write_b32 v0, v1 offset:2464
	s_and_saveexec_b64 s[2:3], s[0:1]
	s_cbranch_execz .LBB0_29
; %bb.28:
	v_mov_b32_e32 v11, v9
	v_lshl_add_u64 v[8:9], v[10:11], 2, s[8:9]
	global_load_dword v1, v[8:9], off offset:3864
	v_lshl_add_u32 v7, v10, 2, v20
	ds_read_b32 v8, v7
	ds_read_b32 v9, v0 offset:2112
	s_waitcnt lgkmcnt(0)
	v_pk_add_f16 v10, v8, v9 neg_lo:[0,1] neg_hi:[0,1]
	v_pk_add_f16 v8, v8, v9
	s_nop 0
	v_bfi_b32 v9, s10, v10, v8
	v_bfi_b32 v8, s10, v8, v10
	v_pk_mul_f16 v9, v9, 0.5 op_sel_hi:[1,0]
	v_pk_mul_f16 v8, v8, 0.5 op_sel_hi:[1,0]
	s_waitcnt vmcnt(0)
	v_pk_mul_f16 v11, v1, v9 op_sel_hi:[0,1]
	v_pk_fma_f16 v10, v1, v9, v8 op_sel:[1,0,0]
	v_pk_fma_f16 v12, v1, v9, v8 op_sel:[1,0,0] neg_lo:[1,0,0] neg_hi:[1,0,0]
	v_pk_fma_f16 v1, v1, v9, v8 op_sel:[1,0,0] neg_lo:[0,0,1] neg_hi:[0,0,1]
	v_pk_add_f16 v8, v10, v11 op_sel:[0,1] op_sel_hi:[1,0]
	v_pk_add_f16 v9, v10, v11 op_sel:[0,1] op_sel_hi:[1,0] neg_lo:[0,1] neg_hi:[0,1]
	v_pk_add_f16 v10, v12, v11 op_sel:[0,1] op_sel_hi:[1,0] neg_lo:[0,1] neg_hi:[0,1]
	;; [unrolled: 1-line block ×3, first 2 shown]
	v_bfi_b32 v8, s10, v8, v9
	v_bfi_b32 v1, s10, v10, v1
	ds_write_b32 v7, v8
	ds_write_b32 v0, v1 offset:2112
.LBB0_29:
	s_or_b64 exec, exec, s[2:3]
	s_waitcnt lgkmcnt(0)
	s_barrier
	s_and_saveexec_b64 s[0:1], vcc
	s_cbranch_execz .LBB0_32
; %bb.30:
	v_mul_lo_u32 v7, s5, v4
	v_mad_u64_u32 v[0:1], s[0:1], s4, v4, 0
	v_lshl_add_u32 v4, v6, 2, v20
	v_mul_lo_u32 v5, s4, v5
	ds_read2_b32 v[8:9], v4 offset1:88
	v_add3_u32 v1, v1, v5, v7
	v_lshl_add_u64 v[0:1], v[0:1], 2, s[6:7]
	v_mov_b32_e32 v7, 0
	v_lshl_add_u64 v[0:1], v[2:3], 2, v[0:1]
	v_add_u32_e32 v5, 0x200, v4
	v_lshl_add_u64 v[2:3], v[6:7], 2, v[0:1]
	ds_read2_b32 v[10:11], v5 offset0:48 offset1:136
	s_waitcnt lgkmcnt(1)
	global_store_dword v[2:3], v8, off
	v_add_u32_e32 v2, 0x58, v6
	v_mov_b32_e32 v3, v7
	v_lshl_add_u64 v[2:3], v[2:3], 2, v[0:1]
	global_store_dword v[2:3], v9, off
	v_add_u32_e32 v2, 0xb0, v6
	v_mov_b32_e32 v3, v7
	v_add_u32_e32 v5, 0x400, v4
	v_lshl_add_u64 v[2:3], v[2:3], 2, v[0:1]
	ds_read2_b32 v[8:9], v5 offset0:96 offset1:184
	s_waitcnt lgkmcnt(1)
	global_store_dword v[2:3], v10, off
	v_add_u32_e32 v2, 0x108, v6
	v_mov_b32_e32 v3, v7
	v_lshl_add_u64 v[2:3], v[2:3], 2, v[0:1]
	global_store_dword v[2:3], v11, off
	v_add_u32_e32 v2, 0x160, v6
	v_mov_b32_e32 v3, v7
	;; [unrolled: 11-line block ×4, first 2 shown]
	v_lshl_add_u64 v[2:3], v[2:3], 2, v[0:1]
	ds_read_b32 v5, v4 offset:3520
	s_waitcnt lgkmcnt(1)
	global_store_dword v[2:3], v8, off
	v_add_u32_e32 v2, 0x318, v6
	v_mov_b32_e32 v3, v7
	v_lshl_add_u64 v[2:3], v[2:3], 2, v[0:1]
	global_store_dword v[2:3], v9, off
	v_add_u32_e32 v2, 0x370, v6
	v_mov_b32_e32 v3, v7
	s_movk_i32 s0, 0x57
	v_lshl_add_u64 v[2:3], v[2:3], 2, v[0:1]
	v_cmp_eq_u32_e32 vcc, s0, v6
	s_waitcnt lgkmcnt(0)
	global_store_dword v[2:3], v5, off
	s_and_b64 exec, exec, vcc
	s_cbranch_execz .LBB0_32
; %bb.31:
	ds_read_b32 v2, v4 offset:3524
	s_waitcnt lgkmcnt(0)
	global_store_dword v[0:1], v2, off offset:3872
.LBB0_32:
	s_endpgm
	.section	.rodata,"a",@progbits
	.p2align	6, 0x0
	.amdhsa_kernel fft_rtc_back_len968_factors_2_2_2_11_11_wgs_176_tpt_88_half_op_CI_CI_unitstride_sbrr_R2C_dirReg
		.amdhsa_group_segment_fixed_size 0
		.amdhsa_private_segment_fixed_size 0
		.amdhsa_kernarg_size 104
		.amdhsa_user_sgpr_count 2
		.amdhsa_user_sgpr_dispatch_ptr 0
		.amdhsa_user_sgpr_queue_ptr 0
		.amdhsa_user_sgpr_kernarg_segment_ptr 1
		.amdhsa_user_sgpr_dispatch_id 0
		.amdhsa_user_sgpr_kernarg_preload_length 0
		.amdhsa_user_sgpr_kernarg_preload_offset 0
		.amdhsa_user_sgpr_private_segment_size 0
		.amdhsa_uses_dynamic_stack 0
		.amdhsa_enable_private_segment 0
		.amdhsa_system_sgpr_workgroup_id_x 1
		.amdhsa_system_sgpr_workgroup_id_y 0
		.amdhsa_system_sgpr_workgroup_id_z 0
		.amdhsa_system_sgpr_workgroup_info 0
		.amdhsa_system_vgpr_workitem_id 0
		.amdhsa_next_free_vgpr 63
		.amdhsa_next_free_sgpr 28
		.amdhsa_accum_offset 64
		.amdhsa_reserve_vcc 1
		.amdhsa_float_round_mode_32 0
		.amdhsa_float_round_mode_16_64 0
		.amdhsa_float_denorm_mode_32 3
		.amdhsa_float_denorm_mode_16_64 3
		.amdhsa_dx10_clamp 1
		.amdhsa_ieee_mode 1
		.amdhsa_fp16_overflow 0
		.amdhsa_tg_split 0
		.amdhsa_exception_fp_ieee_invalid_op 0
		.amdhsa_exception_fp_denorm_src 0
		.amdhsa_exception_fp_ieee_div_zero 0
		.amdhsa_exception_fp_ieee_overflow 0
		.amdhsa_exception_fp_ieee_underflow 0
		.amdhsa_exception_fp_ieee_inexact 0
		.amdhsa_exception_int_div_zero 0
	.end_amdhsa_kernel
	.text
.Lfunc_end0:
	.size	fft_rtc_back_len968_factors_2_2_2_11_11_wgs_176_tpt_88_half_op_CI_CI_unitstride_sbrr_R2C_dirReg, .Lfunc_end0-fft_rtc_back_len968_factors_2_2_2_11_11_wgs_176_tpt_88_half_op_CI_CI_unitstride_sbrr_R2C_dirReg
                                        ; -- End function
	.section	.AMDGPU.csdata,"",@progbits
; Kernel info:
; codeLenInByte = 10436
; NumSgprs: 34
; NumVgprs: 63
; NumAgprs: 0
; TotalNumVgprs: 63
; ScratchSize: 0
; MemoryBound: 0
; FloatMode: 240
; IeeeMode: 1
; LDSByteSize: 0 bytes/workgroup (compile time only)
; SGPRBlocks: 4
; VGPRBlocks: 7
; NumSGPRsForWavesPerEU: 34
; NumVGPRsForWavesPerEU: 63
; AccumOffset: 64
; Occupancy: 8
; WaveLimiterHint : 1
; COMPUTE_PGM_RSRC2:SCRATCH_EN: 0
; COMPUTE_PGM_RSRC2:USER_SGPR: 2
; COMPUTE_PGM_RSRC2:TRAP_HANDLER: 0
; COMPUTE_PGM_RSRC2:TGID_X_EN: 1
; COMPUTE_PGM_RSRC2:TGID_Y_EN: 0
; COMPUTE_PGM_RSRC2:TGID_Z_EN: 0
; COMPUTE_PGM_RSRC2:TIDIG_COMP_CNT: 0
; COMPUTE_PGM_RSRC3_GFX90A:ACCUM_OFFSET: 15
; COMPUTE_PGM_RSRC3_GFX90A:TG_SPLIT: 0
	.text
	.p2alignl 6, 3212836864
	.fill 256, 4, 3212836864
	.type	__hip_cuid_8e8a71f0a8970b90,@object ; @__hip_cuid_8e8a71f0a8970b90
	.section	.bss,"aw",@nobits
	.globl	__hip_cuid_8e8a71f0a8970b90
__hip_cuid_8e8a71f0a8970b90:
	.byte	0                               ; 0x0
	.size	__hip_cuid_8e8a71f0a8970b90, 1

	.ident	"AMD clang version 19.0.0git (https://github.com/RadeonOpenCompute/llvm-project roc-6.4.0 25133 c7fe45cf4b819c5991fe208aaa96edf142730f1d)"
	.section	".note.GNU-stack","",@progbits
	.addrsig
	.addrsig_sym __hip_cuid_8e8a71f0a8970b90
	.amdgpu_metadata
---
amdhsa.kernels:
  - .agpr_count:     0
    .args:
      - .actual_access:  read_only
        .address_space:  global
        .offset:         0
        .size:           8
        .value_kind:     global_buffer
      - .offset:         8
        .size:           8
        .value_kind:     by_value
      - .actual_access:  read_only
        .address_space:  global
        .offset:         16
        .size:           8
        .value_kind:     global_buffer
      - .actual_access:  read_only
        .address_space:  global
        .offset:         24
        .size:           8
        .value_kind:     global_buffer
      - .actual_access:  read_only
        .address_space:  global
        .offset:         32
        .size:           8
        .value_kind:     global_buffer
      - .offset:         40
        .size:           8
        .value_kind:     by_value
      - .actual_access:  read_only
        .address_space:  global
        .offset:         48
        .size:           8
        .value_kind:     global_buffer
      - .actual_access:  read_only
        .address_space:  global
        .offset:         56
        .size:           8
        .value_kind:     global_buffer
      - .offset:         64
        .size:           4
        .value_kind:     by_value
      - .actual_access:  read_only
        .address_space:  global
        .offset:         72
        .size:           8
        .value_kind:     global_buffer
      - .actual_access:  read_only
        .address_space:  global
        .offset:         80
        .size:           8
        .value_kind:     global_buffer
      - .actual_access:  read_only
        .address_space:  global
        .offset:         88
        .size:           8
        .value_kind:     global_buffer
      - .actual_access:  write_only
        .address_space:  global
        .offset:         96
        .size:           8
        .value_kind:     global_buffer
    .group_segment_fixed_size: 0
    .kernarg_segment_align: 8
    .kernarg_segment_size: 104
    .language:       OpenCL C
    .language_version:
      - 2
      - 0
    .max_flat_workgroup_size: 176
    .name:           fft_rtc_back_len968_factors_2_2_2_11_11_wgs_176_tpt_88_half_op_CI_CI_unitstride_sbrr_R2C_dirReg
    .private_segment_fixed_size: 0
    .sgpr_count:     34
    .sgpr_spill_count: 0
    .symbol:         fft_rtc_back_len968_factors_2_2_2_11_11_wgs_176_tpt_88_half_op_CI_CI_unitstride_sbrr_R2C_dirReg.kd
    .uniform_work_group_size: 1
    .uses_dynamic_stack: false
    .vgpr_count:     63
    .vgpr_spill_count: 0
    .wavefront_size: 64
amdhsa.target:   amdgcn-amd-amdhsa--gfx950
amdhsa.version:
  - 1
  - 2
...

	.end_amdgpu_metadata
